;; amdgpu-corpus repo=ROCm/rocFFT kind=compiled arch=gfx906 opt=O3
	.text
	.amdgcn_target "amdgcn-amd-amdhsa--gfx906"
	.amdhsa_code_object_version 6
	.protected	fft_rtc_fwd_len882_factors_9_7_7_2_wgs_63_tpt_63_half_ip_CI_unitstride_sbrr_R2C_dirReg ; -- Begin function fft_rtc_fwd_len882_factors_9_7_7_2_wgs_63_tpt_63_half_ip_CI_unitstride_sbrr_R2C_dirReg
	.globl	fft_rtc_fwd_len882_factors_9_7_7_2_wgs_63_tpt_63_half_ip_CI_unitstride_sbrr_R2C_dirReg
	.p2align	8
	.type	fft_rtc_fwd_len882_factors_9_7_7_2_wgs_63_tpt_63_half_ip_CI_unitstride_sbrr_R2C_dirReg,@function
fft_rtc_fwd_len882_factors_9_7_7_2_wgs_63_tpt_63_half_ip_CI_unitstride_sbrr_R2C_dirReg: ; @fft_rtc_fwd_len882_factors_9_7_7_2_wgs_63_tpt_63_half_ip_CI_unitstride_sbrr_R2C_dirReg
; %bb.0:
	s_load_dwordx2 s[2:3], s[4:5], 0x50
	s_load_dwordx4 s[8:11], s[4:5], 0x0
	s_load_dwordx2 s[12:13], s[4:5], 0x18
	v_mul_u32_u24_e32 v1, 0x411, v0
	v_add_u32_sdwa v5, s6, v1 dst_sel:DWORD dst_unused:UNUSED_PAD src0_sel:DWORD src1_sel:WORD_1
	v_mov_b32_e32 v3, 0
	s_waitcnt lgkmcnt(0)
	v_cmp_lt_u64_e64 s[0:1], s[10:11], 2
	v_mov_b32_e32 v1, 0
	v_mov_b32_e32 v6, v3
	s_and_b64 vcc, exec, s[0:1]
	v_mov_b32_e32 v2, 0
	s_cbranch_vccnz .LBB0_8
; %bb.1:
	s_load_dwordx2 s[0:1], s[4:5], 0x10
	s_add_u32 s6, s12, 8
	s_addc_u32 s7, s13, 0
	v_mov_b32_e32 v1, 0
	v_mov_b32_e32 v2, 0
	s_waitcnt lgkmcnt(0)
	s_add_u32 s14, s0, 8
	s_addc_u32 s15, s1, 0
	s_mov_b64 s[16:17], 1
.LBB0_2:                                ; =>This Inner Loop Header: Depth=1
	s_load_dwordx2 s[18:19], s[14:15], 0x0
                                        ; implicit-def: $vgpr7_vgpr8
	s_waitcnt lgkmcnt(0)
	v_or_b32_e32 v4, s19, v6
	v_cmp_ne_u64_e32 vcc, 0, v[3:4]
	s_and_saveexec_b64 s[0:1], vcc
	s_xor_b64 s[20:21], exec, s[0:1]
	s_cbranch_execz .LBB0_4
; %bb.3:                                ;   in Loop: Header=BB0_2 Depth=1
	v_cvt_f32_u32_e32 v4, s18
	v_cvt_f32_u32_e32 v7, s19
	s_sub_u32 s0, 0, s18
	s_subb_u32 s1, 0, s19
	v_mac_f32_e32 v4, 0x4f800000, v7
	v_rcp_f32_e32 v4, v4
	v_mul_f32_e32 v4, 0x5f7ffffc, v4
	v_mul_f32_e32 v7, 0x2f800000, v4
	v_trunc_f32_e32 v7, v7
	v_mac_f32_e32 v4, 0xcf800000, v7
	v_cvt_u32_f32_e32 v7, v7
	v_cvt_u32_f32_e32 v4, v4
	v_mul_lo_u32 v8, s0, v7
	v_mul_hi_u32 v9, s0, v4
	v_mul_lo_u32 v11, s1, v4
	v_mul_lo_u32 v10, s0, v4
	v_add_u32_e32 v8, v9, v8
	v_add_u32_e32 v8, v8, v11
	v_mul_hi_u32 v9, v4, v10
	v_mul_lo_u32 v11, v4, v8
	v_mul_hi_u32 v13, v4, v8
	v_mul_hi_u32 v12, v7, v10
	v_mul_lo_u32 v10, v7, v10
	v_mul_hi_u32 v14, v7, v8
	v_add_co_u32_e32 v9, vcc, v9, v11
	v_addc_co_u32_e32 v11, vcc, 0, v13, vcc
	v_mul_lo_u32 v8, v7, v8
	v_add_co_u32_e32 v9, vcc, v9, v10
	v_addc_co_u32_e32 v9, vcc, v11, v12, vcc
	v_addc_co_u32_e32 v10, vcc, 0, v14, vcc
	v_add_co_u32_e32 v8, vcc, v9, v8
	v_addc_co_u32_e32 v9, vcc, 0, v10, vcc
	v_add_co_u32_e32 v4, vcc, v4, v8
	v_addc_co_u32_e32 v7, vcc, v7, v9, vcc
	v_mul_lo_u32 v8, s0, v7
	v_mul_hi_u32 v9, s0, v4
	v_mul_lo_u32 v10, s1, v4
	v_mul_lo_u32 v11, s0, v4
	v_add_u32_e32 v8, v9, v8
	v_add_u32_e32 v8, v8, v10
	v_mul_lo_u32 v12, v4, v8
	v_mul_hi_u32 v13, v4, v11
	v_mul_hi_u32 v14, v4, v8
	;; [unrolled: 1-line block ×3, first 2 shown]
	v_mul_lo_u32 v11, v7, v11
	v_mul_hi_u32 v9, v7, v8
	v_add_co_u32_e32 v12, vcc, v13, v12
	v_addc_co_u32_e32 v13, vcc, 0, v14, vcc
	v_mul_lo_u32 v8, v7, v8
	v_add_co_u32_e32 v11, vcc, v12, v11
	v_addc_co_u32_e32 v10, vcc, v13, v10, vcc
	v_addc_co_u32_e32 v9, vcc, 0, v9, vcc
	v_add_co_u32_e32 v8, vcc, v10, v8
	v_addc_co_u32_e32 v9, vcc, 0, v9, vcc
	v_add_co_u32_e32 v4, vcc, v4, v8
	v_addc_co_u32_e32 v9, vcc, v7, v9, vcc
	v_mad_u64_u32 v[7:8], s[0:1], v5, v9, 0
	v_mul_hi_u32 v10, v5, v4
	v_add_co_u32_e32 v11, vcc, v10, v7
	v_addc_co_u32_e32 v12, vcc, 0, v8, vcc
	v_mad_u64_u32 v[7:8], s[0:1], v6, v4, 0
	v_mad_u64_u32 v[9:10], s[0:1], v6, v9, 0
	v_add_co_u32_e32 v4, vcc, v11, v7
	v_addc_co_u32_e32 v4, vcc, v12, v8, vcc
	v_addc_co_u32_e32 v7, vcc, 0, v10, vcc
	v_add_co_u32_e32 v4, vcc, v4, v9
	v_addc_co_u32_e32 v9, vcc, 0, v7, vcc
	v_mul_lo_u32 v10, s19, v4
	v_mul_lo_u32 v11, s18, v9
	v_mad_u64_u32 v[7:8], s[0:1], s18, v4, 0
	v_add3_u32 v8, v8, v11, v10
	v_sub_u32_e32 v10, v6, v8
	v_mov_b32_e32 v11, s19
	v_sub_co_u32_e32 v7, vcc, v5, v7
	v_subb_co_u32_e64 v10, s[0:1], v10, v11, vcc
	v_subrev_co_u32_e64 v11, s[0:1], s18, v7
	v_subbrev_co_u32_e64 v10, s[0:1], 0, v10, s[0:1]
	v_cmp_le_u32_e64 s[0:1], s19, v10
	v_cndmask_b32_e64 v12, 0, -1, s[0:1]
	v_cmp_le_u32_e64 s[0:1], s18, v11
	v_cndmask_b32_e64 v11, 0, -1, s[0:1]
	v_cmp_eq_u32_e64 s[0:1], s19, v10
	v_cndmask_b32_e64 v10, v12, v11, s[0:1]
	v_add_co_u32_e64 v11, s[0:1], 2, v4
	v_addc_co_u32_e64 v12, s[0:1], 0, v9, s[0:1]
	v_add_co_u32_e64 v13, s[0:1], 1, v4
	v_addc_co_u32_e64 v14, s[0:1], 0, v9, s[0:1]
	v_subb_co_u32_e32 v8, vcc, v6, v8, vcc
	v_cmp_ne_u32_e64 s[0:1], 0, v10
	v_cmp_le_u32_e32 vcc, s19, v8
	v_cndmask_b32_e64 v10, v14, v12, s[0:1]
	v_cndmask_b32_e64 v12, 0, -1, vcc
	v_cmp_le_u32_e32 vcc, s18, v7
	v_cndmask_b32_e64 v7, 0, -1, vcc
	v_cmp_eq_u32_e32 vcc, s19, v8
	v_cndmask_b32_e32 v7, v12, v7, vcc
	v_cmp_ne_u32_e32 vcc, 0, v7
	v_cndmask_b32_e64 v7, v13, v11, s[0:1]
	v_cndmask_b32_e32 v8, v9, v10, vcc
	v_cndmask_b32_e32 v7, v4, v7, vcc
.LBB0_4:                                ;   in Loop: Header=BB0_2 Depth=1
	s_andn2_saveexec_b64 s[0:1], s[20:21]
	s_cbranch_execz .LBB0_6
; %bb.5:                                ;   in Loop: Header=BB0_2 Depth=1
	v_cvt_f32_u32_e32 v4, s18
	s_sub_i32 s20, 0, s18
	v_rcp_iflag_f32_e32 v4, v4
	v_mul_f32_e32 v4, 0x4f7ffffe, v4
	v_cvt_u32_f32_e32 v4, v4
	v_mul_lo_u32 v7, s20, v4
	v_mul_hi_u32 v7, v4, v7
	v_add_u32_e32 v4, v4, v7
	v_mul_hi_u32 v4, v5, v4
	v_mul_lo_u32 v7, v4, s18
	v_add_u32_e32 v8, 1, v4
	v_sub_u32_e32 v7, v5, v7
	v_subrev_u32_e32 v9, s18, v7
	v_cmp_le_u32_e32 vcc, s18, v7
	v_cndmask_b32_e32 v7, v7, v9, vcc
	v_cndmask_b32_e32 v4, v4, v8, vcc
	v_add_u32_e32 v8, 1, v4
	v_cmp_le_u32_e32 vcc, s18, v7
	v_cndmask_b32_e32 v7, v4, v8, vcc
	v_mov_b32_e32 v8, v3
.LBB0_6:                                ;   in Loop: Header=BB0_2 Depth=1
	s_or_b64 exec, exec, s[0:1]
	v_mul_lo_u32 v4, v8, s18
	v_mul_lo_u32 v11, v7, s19
	v_mad_u64_u32 v[9:10], s[0:1], v7, s18, 0
	s_load_dwordx2 s[0:1], s[6:7], 0x0
	s_add_u32 s16, s16, 1
	v_add3_u32 v4, v10, v11, v4
	v_sub_co_u32_e32 v5, vcc, v5, v9
	v_subb_co_u32_e32 v4, vcc, v6, v4, vcc
	s_waitcnt lgkmcnt(0)
	v_mul_lo_u32 v4, s0, v4
	v_mul_lo_u32 v6, s1, v5
	v_mad_u64_u32 v[1:2], s[0:1], s0, v5, v[1:2]
	s_addc_u32 s17, s17, 0
	s_add_u32 s6, s6, 8
	v_add3_u32 v2, v6, v2, v4
	v_mov_b32_e32 v4, s10
	v_mov_b32_e32 v5, s11
	s_addc_u32 s7, s7, 0
	v_cmp_ge_u64_e32 vcc, s[16:17], v[4:5]
	s_add_u32 s14, s14, 8
	s_addc_u32 s15, s15, 0
	s_cbranch_vccnz .LBB0_9
; %bb.7:                                ;   in Loop: Header=BB0_2 Depth=1
	v_mov_b32_e32 v5, v7
	v_mov_b32_e32 v6, v8
	s_branch .LBB0_2
.LBB0_8:
	v_mov_b32_e32 v8, v6
	v_mov_b32_e32 v7, v5
.LBB0_9:
	s_lshl_b64 s[0:1], s[10:11], 3
	s_add_u32 s0, s12, s0
	s_addc_u32 s1, s13, s1
	s_load_dwordx2 s[6:7], s[0:1], 0x0
	s_load_dwordx2 s[10:11], s[4:5], 0x20
	s_waitcnt lgkmcnt(0)
	v_mad_u64_u32 v[1:2], s[0:1], s6, v7, v[1:2]
	s_mov_b32 s0, 0x4104105
	v_mul_lo_u32 v3, s6, v8
	v_mul_lo_u32 v4, s7, v7
	v_mul_hi_u32 v5, v0, s0
	v_cmp_gt_u64_e32 vcc, s[10:11], v[7:8]
	v_cmp_le_u64_e64 s[0:1], s[10:11], v[7:8]
	v_add3_u32 v2, v4, v2, v3
	v_mul_u32_u24_e32 v3, 63, v5
	v_sub_u32_e32 v0, v0, v3
	v_add_u32_e32 v4, 63, v0
	s_and_saveexec_b64 s[4:5], s[0:1]
	s_xor_b64 s[0:1], exec, s[4:5]
; %bb.10:
	v_add_u32_e32 v4, 63, v0
; %bb.11:
	s_or_saveexec_b64 s[4:5], s[0:1]
	v_lshlrev_b64 v[2:3], 2, v[1:2]
	v_lshl_add_u32 v23, v0, 2, 0
	s_xor_b64 exec, exec, s[4:5]
	s_cbranch_execz .LBB0_13
; %bb.12:
	v_mov_b32_e32 v1, 0
	v_mov_b32_e32 v5, s3
	v_add_co_u32_e64 v7, s[0:1], s2, v2
	v_addc_co_u32_e64 v8, s[0:1], v5, v3, s[0:1]
	v_lshlrev_b64 v[5:6], 2, v[0:1]
	v_add_u32_e32 v20, 0x600, v23
	v_add_co_u32_e64 v5, s[0:1], v7, v5
	v_addc_co_u32_e64 v6, s[0:1], v8, v6, s[0:1]
	global_load_dword v1, v[5:6], off
	global_load_dword v7, v[5:6], off offset:252
	global_load_dword v8, v[5:6], off offset:504
	;; [unrolled: 1-line block ×13, first 2 shown]
	v_add_u32_e32 v5, 0x200, v23
	v_add_u32_e32 v6, 0x400, v23
	;; [unrolled: 1-line block ×4, first 2 shown]
	s_waitcnt vmcnt(12)
	ds_write2_b32 v23, v1, v7 offset1:63
	s_waitcnt vmcnt(10)
	ds_write2_b32 v23, v8, v9 offset0:126 offset1:189
	s_waitcnt vmcnt(8)
	ds_write2_b32 v5, v10, v11 offset0:124 offset1:187
	;; [unrolled: 2-line block ×6, first 2 shown]
.LBB0_13:
	s_or_b64 exec, exec, s[4:5]
	s_waitcnt lgkmcnt(0)
	; wave barrier
	s_waitcnt lgkmcnt(0)
	ds_read2_b32 v[7:8], v23 offset0:98 offset1:161
	v_add_u32_e32 v1, 0x200, v23
	v_add_u32_e32 v5, 0xc00, v23
	ds_read2_b32 v[9:10], v1 offset0:68 offset1:131
	v_add_u32_e32 v24, 0x800, v23
	ds_read2_b32 v[13:14], v5 offset0:16 offset1:79
	ds_read2_b32 v[11:12], v24 offset0:174 offset1:237
	ds_read2_b32 v[5:6], v23 offset1:63
	s_movk_i32 s7, 0x3a21
	s_movk_i32 s10, 0x318f
	s_waitcnt lgkmcnt(2)
	v_pk_add_f16 v27, v7, v13
	s_waitcnt lgkmcnt(1)
	v_pk_add_f16 v28, v9, v11
	v_lshrrev_b32_e32 v29, 16, v27
	s_waitcnt lgkmcnt(0)
	v_fma_f16 v15, v27, s7, v5
	v_lshrrev_b32_e32 v30, 16, v5
	v_add_u32_e32 v25, 0x400, v23
	v_fma_f16 v31, v28, s10, v15
	v_fma_f16 v19, v29, s7, v30
	v_lshrrev_b32_e32 v32, 16, v28
	ds_read2_b32 v[15:16], v25 offset0:38 offset1:101
	ds_read2_b32 v[17:18], v24 offset0:76 offset1:139
	v_add_u32_e32 v26, 0x600, v23
	v_fma_f16 v33, v32, s10, v19
	ds_read2_b32 v[19:20], v25 offset0:136 offset1:199
	ds_read2_b32 v[21:22], v26 offset0:106 offset1:169
	v_pk_add_f16 v7, v7, v13 neg_lo:[0,1] neg_hi:[0,1]
	v_pk_add_f16 v9, v9, v11 neg_lo:[0,1] neg_hi:[0,1]
	v_lshrrev_b32_e32 v37, 16, v7
	s_waitcnt lgkmcnt(2)
	v_pk_add_f16 v34, v15, v17
	v_pk_add_f16 v35, v28, v27
	s_movk_i32 s11, 0x3aee
	s_movk_i32 s12, 0x3be1
	v_mul_f16_e32 v11, 0x3924, v7
	v_mul_f16_e32 v13, 0x3924, v37
	v_lshrrev_b32_e32 v38, 16, v9
	v_pk_add_f16 v15, v15, v17 neg_lo:[0,1] neg_hi:[0,1]
	v_pk_add_f16 v36, v34, v35
	v_fma_f16 v11, v9, s12, v11
	v_fma_f16 v13, v38, s12, v13
	v_pk_mul_f16 v17, v15, s11 op_sel_hi:[1,0]
	s_waitcnt lgkmcnt(0)
	v_pk_add_f16 v39, v19, v21 neg_lo:[0,1] neg_hi:[0,1]
	v_pk_add_f16 v36, v19, v36
	v_add_f16_e32 v11, v17, v11
	v_add_f16_sdwa v13, v17, v13 dst_sel:DWORD dst_unused:UNUSED_PAD src0_sel:WORD_1 src1_sel:DWORD
	s_movk_i32 s13, 0x3579
	v_lshrrev_b32_e32 v41, 16, v39
	v_pk_mul_f16 v43, v34, 0.5 op_sel_hi:[1,0]
	v_pk_add_f16 v19, v19, v21
	v_pk_add_f16 v36, v21, v36
	v_fma_f16 v40, v39, s13, v11
	v_fma_f16 v42, v41, s13, v13
	v_sub_f16_e32 v11, v31, v43
	v_sub_f16_sdwa v13, v33, v43 dst_sel:DWORD dst_unused:UNUSED_PAD src0_sel:DWORD src1_sel:WORD_1
	s_mov_b32 s14, 0xbb84
	v_lshrrev_b32_e32 v21, 16, v19
	v_fma_f16 v11, v19, s14, v11
	v_fma_f16 v13, v21, s14, v13
	v_add_f16_e32 v31, v42, v11
	v_sub_f16_e32 v33, v13, v40
	v_lshlrev_b32_e32 v13, 5, v0
	v_pk_add_f16 v36, v36, v5
	v_add_u32_e32 v11, v23, v13
	v_pack_b32_f16 v44, v31, v33
	s_mov_b32 s15, 0xb924
	s_waitcnt lgkmcnt(0)
	; wave barrier
	ds_write2_b32 v11, v36, v44 offset1:1
	v_pk_mul_f16 v36, v39, s15 op_sel_hi:[1,0]
	v_pk_fma_f16 v36, v7, s12, v36 op_sel_hi:[1,0,1]
	v_pk_fma_f16 v15, v15, s11, v36 op_sel_hi:[1,0,1] neg_lo:[1,0,0] neg_hi:[1,0,0]
	v_pk_add_f16 v44, v39, v7
	v_fma_f16 v30, v32, s7, v30
	v_mul_f16_e32 v32, 0x3be1, v39
	v_pk_fma_f16 v36, v19, s7, v5 op_sel_hi:[1,0,1]
	v_pk_fma_f16 v15, v9, s13, v15 op_sel_hi:[1,0,1]
	v_pk_add_f16 v44, v44, v9 neg_lo:[0,1] neg_hi:[0,1]
	v_fma_f16 v9, v9, s15, -v32
	v_mul_f16_e32 v32, 0x3be1, v41
	v_pk_fma_f16 v36, v27, s10, v36 op_sel_hi:[1,0,1]
	v_fma_f16 v32, v38, s15, -v32
	v_pk_fma_f16 v36, v34, 0.5, v36 op_sel_hi:[1,0,1] neg_lo:[1,0,0] neg_hi:[1,0,0]
	v_pk_add_f16 v34, v34, v5
	v_add_f16_e32 v9, v17, v9
	v_add_f16_sdwa v17, v17, v32 dst_sel:DWORD dst_unused:UNUSED_PAD src0_sel:WORD_1 src1_sel:DWORD
	v_fma_f16 v5, v28, s7, v5
	v_fma_f16 v7, v7, s13, v9
	;; [unrolled: 1-line block ×5, first 2 shown]
	v_sub_f16_e32 v5, v5, v43
	v_sub_f16_sdwa v17, v17, v43 dst_sel:DWORD dst_unused:UNUSED_PAD src0_sel:DWORD src1_sel:WORD_1
	v_fma_f16 v5, v27, s14, v5
	v_fma_f16 v17, v29, s14, v17
	v_pk_add_f16 v35, v19, v35
	v_add_f16_e32 v5, v9, v5
	v_sub_f16_e32 v17, v17, v7
	v_pk_fma_f16 v34, v35, 0.5, v34 op_sel_hi:[1,0,1] neg_lo:[1,0,0] neg_hi:[1,0,0]
	v_pk_fma_f16 v35, v28, s14, v36 op_sel_hi:[1,0,1]
	v_fma_f16 v9, v9, -2.0, v5
	v_fma_f16 v7, v7, 2.0, v17
	v_pk_add_f16 v36, v35, v15 op_sel:[0,1] op_sel_hi:[1,0]
	v_pk_add_f16 v35, v35, v15 op_sel:[0,1] op_sel_hi:[1,0] neg_lo:[0,1] neg_hi:[0,1]
	v_pk_mul_f16 v44, v44, s11 op_sel_hi:[1,0]
	v_pack_b32_f16 v5, v5, v17
	v_pack_b32_f16 v7, v9, v7
	v_pk_add_f16 v45, v34, v44 op_sel:[0,1] op_sel_hi:[1,0]
	v_pk_add_f16 v34, v34, v44 op_sel:[0,1] op_sel_hi:[1,0] neg_lo:[0,1] neg_hi:[0,1]
	ds_write2_b32 v11, v5, v7 offset0:4 offset1:5
	v_lshrrev_b32_e32 v7, 16, v35
	v_lshrrev_b32_e32 v5, 16, v15
	v_fma_f16 v7, v15, 2.0, v7
	v_lshrrev_b32_e32 v9, 16, v44
	v_lshrrev_b32_e32 v15, 16, v34
	v_fma_f16 v5, v5, -2.0, v36
	v_fma_f16 v9, v9, -2.0, v45
	v_fma_f16 v15, v44, 2.0, v15
	v_pack_b32_f16 v9, v9, v15
	v_pack_b32_f16 v5, v5, v7
	s_mov_b32 s6, 0xffff
	ds_write2_b32 v11, v9, v5 offset0:6 offset1:7
	v_fma_f16 v5, v42, -2.0, v31
	v_fma_f16 v7, v40, 2.0, v33
	v_bfi_b32 v46, s6, v36, v35
	v_bfi_b32 v47, s6, v45, v34
	v_pack_b32_f16 v5, v5, v7
	v_cmp_gt_u32_e64 s[0:1], 35, v0
	ds_write2_b32 v11, v46, v47 offset0:2 offset1:3
	ds_write_b32 v11, v5 offset:32
	s_and_saveexec_b64 s[4:5], s[0:1]
	s_cbranch_execz .LBB0_15
; %bb.14:
	v_pk_add_f16 v5, v10, v12
	v_pk_add_f16 v15, v8, v14
	;; [unrolled: 1-line block ×5, first 2 shown]
	v_lshrrev_b32_e32 v17, 16, v5
	v_lshrrev_b32_e32 v19, 16, v6
	v_pk_add_f16 v30, v20, v30
	v_pk_add_f16 v31, v20, v22 neg_lo:[0,1] neg_hi:[0,1]
	v_pk_add_f16 v20, v20, v22
	v_fma_f16 v21, v17, s7, v19
	v_pk_add_f16 v10, v10, v12 neg_lo:[0,1] neg_hi:[0,1]
	v_pk_add_f16 v16, v16, v18 neg_lo:[0,1] neg_hi:[0,1]
	v_mul_f16_e32 v34, 0x3be1, v31
	v_lshrrev_b32_e32 v35, 16, v20
	v_pk_add_f16 v30, v22, v30
	v_pk_mul_f16 v18, v16, s11 op_sel_hi:[1,0]
	v_pk_mul_f16 v22, v9, 0.5 op_sel_hi:[1,0]
	v_fma_f16 v34, v10, s15, -v34
	v_fma_f16 v21, v35, s10, v21
	v_lshrrev_b32_e32 v27, 16, v15
	v_pk_add_f16 v8, v8, v14 neg_lo:[0,1] neg_hi:[0,1]
	v_add_f16_e32 v34, v18, v34
	v_sub_f16_sdwa v21, v21, v22 dst_sel:DWORD dst_unused:UNUSED_PAD src0_sel:DWORD src1_sel:WORD_1
	v_fma_f16 v7, v5, s7, v6
	v_fma_f16 v34, v8, s13, v34
	;; [unrolled: 1-line block ×4, first 2 shown]
	v_sub_f16_e32 v21, v21, v34
	v_fma_f16 v19, v27, s7, v19
	v_sub_f16_e32 v7, v7, v22
	v_fma_f16 v27, v34, 2.0, v21
	v_pk_mul_f16 v34, v31, s15 op_sel_hi:[1,0]
	v_pk_fma_f16 v36, v20, s7, v6 op_sel_hi:[1,0,1]
	v_fma_f16 v28, v15, s7, v6
	v_fma_f16 v7, v15, s14, v7
	v_pk_fma_f16 v34, v8, s12, v34 op_sel_hi:[1,0,1]
	v_pk_fma_f16 v15, v15, s10, v36 op_sel_hi:[1,0,1]
	v_lshrrev_b32_e32 v32, 16, v31
	v_pk_fma_f16 v16, v16, s11, v34 op_sel_hi:[1,0,1] neg_lo:[1,0,0] neg_hi:[1,0,0]
	v_pk_fma_f16 v15, v9, 0.5, v15 op_sel_hi:[1,0,1] neg_lo:[1,0,0] neg_hi:[1,0,0]
	v_fma_f16 v28, v5, s10, v28
	v_lshrrev_b32_e32 v12, 16, v10
	v_mul_f16_e32 v33, 0x3be1, v32
	v_pk_fma_f16 v16, v10, s13, v16 op_sel_hi:[1,0,1]
	v_pk_fma_f16 v5, v5, s14, v15 op_sel_hi:[1,0,1]
	v_fma_f16 v33, v12, s15, -v33
	v_pk_add_f16 v15, v5, v16 op_sel:[0,1] op_sel_hi:[1,0]
	v_pk_add_f16 v5, v5, v16 op_sel:[0,1] op_sel_hi:[1,0] neg_lo:[0,1] neg_hi:[0,1]
	v_lshrrev_b32_e32 v14, 16, v8
	v_add_f16_sdwa v33, v18, v33 dst_sel:DWORD dst_unused:UNUSED_PAD src0_sel:WORD_1 src1_sel:DWORD
	v_bfi_b32 v36, s6, v15, v5
	v_lshrrev_b32_e32 v5, 16, v5
	v_fma_f16 v33, v14, s13, v33
	v_lshrrev_b32_e32 v34, 16, v16
	v_fma_f16 v5, v16, 2.0, v5
	v_mul_f16_e32 v14, 0x3924, v14
	v_mul_f16_e32 v16, 0x3924, v8
	v_fma_f16 v17, v17, s10, v19
	v_fma_f16 v12, v12, s12, v14
	;; [unrolled: 1-line block ×3, first 2 shown]
	v_add_f16_sdwa v12, v18, v12 dst_sel:DWORD dst_unused:UNUSED_PAD src0_sel:WORD_1 src1_sel:DWORD
	v_sub_f16_e32 v14, v28, v22
	v_add_f16_e32 v16, v18, v16
	v_sub_f16_sdwa v17, v17, v22 dst_sel:DWORD dst_unused:UNUSED_PAD src0_sel:DWORD src1_sel:WORD_1
	v_pk_add_f16 v8, v31, v8
	v_pk_add_f16 v30, v30, v6
	v_fma_f16 v12, v32, s13, v12
	v_fma_f16 v14, v20, s14, v14
	;; [unrolled: 1-line block ×4, first 2 shown]
	v_pk_add_f16 v6, v9, v6
	v_pk_add_f16 v8, v8, v10 neg_lo:[0,1] neg_hi:[0,1]
	v_pk_add_f16 v10, v20, v29
	v_add_f16_e32 v14, v12, v14
	v_sub_f16_e32 v17, v17, v16
	v_pk_mul_f16 v8, v8, s11 op_sel_hi:[1,0]
	v_pk_fma_f16 v6, v10, 0.5, v6 op_sel_hi:[1,0,1] neg_lo:[1,0,0] neg_hi:[1,0,0]
	v_mad_i32_i24 v19, v4, 36, 0
	v_fma_f16 v12, v12, -2.0, v14
	v_pack_b32_f16 v14, v14, v17
	v_pk_add_f16 v10, v6, v8 op_sel:[0,1] op_sel_hi:[1,0]
	v_pk_add_f16 v6, v6, v8 op_sel:[0,1] op_sel_hi:[1,0] neg_lo:[0,1] neg_hi:[0,1]
	ds_write2_b32 v19, v30, v14 offset1:1
	v_lshrrev_b32_e32 v9, 16, v8
	v_bfi_b32 v14, s6, v10, v6
	v_lshrrev_b32_e32 v6, 16, v6
	v_add_f16_e32 v7, v33, v7
	v_fma_f16 v15, v34, -2.0, v15
	v_fma_f16 v9, v9, -2.0, v10
	v_fma_f16 v6, v8, 2.0, v6
	v_fma_f16 v33, v33, -2.0, v7
	v_fma_f16 v16, v16, 2.0, v17
	v_pack_b32_f16 v6, v9, v6
	v_pack_b32_f16 v5, v15, v5
	;; [unrolled: 1-line block ×4, first 2 shown]
	ds_write2_b32 v19, v6, v5 offset0:6 offset1:7
	v_pack_b32_f16 v5, v12, v16
	ds_write2_b32 v19, v36, v14 offset0:2 offset1:3
	ds_write2_b32 v19, v7, v8 offset0:4 offset1:5
	ds_write_b32 v19, v5 offset:32
.LBB0_15:
	s_or_b64 exec, exec, s[4:5]
	v_mov_b32_e32 v5, 57
	v_mul_lo_u16_sdwa v6, v0, v5 dst_sel:DWORD dst_unused:UNUSED_PAD src0_sel:BYTE_0 src1_sel:DWORD
	v_lshrrev_b16_e32 v7, 9, v6
	v_mul_lo_u16_e32 v6, 9, v7
	v_sub_u16_e32 v8, v0, v6
	v_mov_b32_e32 v9, 6
	v_mul_lo_u16_sdwa v5, v4, v5 dst_sel:DWORD dst_unused:UNUSED_PAD src0_sel:BYTE_0 src1_sel:DWORD
	v_mul_u32_u24_sdwa v6, v8, v9 dst_sel:DWORD dst_unused:UNUSED_PAD src0_sel:BYTE_0 src1_sel:DWORD
	v_lshrrev_b16_e32 v5, 9, v5
	v_lshlrev_b32_e32 v10, 2, v6
	v_mul_lo_u16_e32 v6, 9, v5
	s_waitcnt lgkmcnt(0)
	; wave barrier
	s_waitcnt lgkmcnt(0)
	global_load_dwordx4 v[15:18], v10, s[8:9]
	v_sub_u16_e32 v6, v4, v6
	v_mul_u32_u24_sdwa v9, v6, v9 dst_sel:DWORD dst_unused:UNUSED_PAD src0_sel:BYTE_0 src1_sel:DWORD
	v_lshlrev_b32_e32 v9, 2, v9
	global_load_dwordx4 v[19:22], v9, s[8:9]
	global_load_dwordx2 v[27:28], v10, s[8:9] offset:16
	global_load_dwordx2 v[29:30], v9, s[8:9] offset:16
	v_sub_u32_e32 v12, v11, v13
	ds_read2_b32 v[31:32], v26 offset0:120 offset1:183
	ds_read2_b32 v[33:34], v25 offset0:59 offset1:185
	v_lshl_add_u32 v10, v4, 2, 0
	ds_read2_b32 v[35:36], v23 offset1:189
	ds_read2_b32 v[37:38], v24 offset0:118 offset1:181
	v_add_u32_e32 v14, 0xa00, v23
	ds_read2_b32 v[39:40], v12 offset0:126 offset1:252
	ds_read_b32 v9, v12 offset:1512
	ds_read_b32 v43, v10
	ds_read2_b32 v[41:42], v14 offset0:116 offset1:179
	s_waitcnt lgkmcnt(7)
	v_lshrrev_b32_e32 v46, 16, v31
	s_waitcnt lgkmcnt(3)
	v_lshrrev_b32_e32 v51, 16, v39
	v_lshrrev_b32_e32 v52, 16, v40
	s_waitcnt lgkmcnt(2)
	v_lshrrev_b32_e32 v53, 16, v9
	v_lshrrev_b32_e32 v44, 16, v33
	v_lshrrev_b32_e32 v45, 16, v34
	v_lshrrev_b32_e32 v47, 16, v32
	v_lshrrev_b32_e32 v48, 16, v36
	v_lshrrev_b32_e32 v49, 16, v37
	v_lshrrev_b32_e32 v50, 16, v38
	s_waitcnt lgkmcnt(0)
	v_lshrrev_b32_e32 v54, 16, v41
	v_lshrrev_b32_e32 v55, 16, v42
	s_movk_i32 s0, 0x2b26
	s_movk_i32 s1, 0x39e0
	s_mov_b32 s5, 0xb9e0
	s_movk_i32 s4, 0x3b00
	s_movk_i32 s7, 0x3574
	s_mov_b32 s11, 0xb574
	s_mov_b32 s10, 0xbcab
	s_movk_i32 s12, 0x370e
	v_mul_u32_u24_e32 v7, 0xfc, v7
	s_waitcnt lgkmcnt(0)
	; wave barrier
	v_mul_u32_u24_e32 v5, 0xfc, v5
	s_waitcnt vmcnt(3)
	v_mul_f16_sdwa v56, v15, v51 dst_sel:DWORD dst_unused:UNUSED_PAD src0_sel:WORD_1 src1_sel:DWORD
	v_mul_f16_sdwa v57, v15, v39 dst_sel:DWORD dst_unused:UNUSED_PAD src0_sel:WORD_1 src1_sel:DWORD
	;; [unrolled: 1-line block ×4, first 2 shown]
	v_fma_f16 v39, v15, v39, -v56
	v_fma_f16 v40, v16, v40, -v58
	v_mul_f16_sdwa v56, v17, v53 dst_sel:DWORD dst_unused:UNUSED_PAD src0_sel:WORD_1 src1_sel:DWORD
	v_mul_f16_sdwa v58, v17, v9 dst_sel:DWORD dst_unused:UNUSED_PAD src0_sel:WORD_1 src1_sel:DWORD
	v_fma_f16 v15, v15, v51, v57
	v_mul_f16_sdwa v51, v18, v31 dst_sel:DWORD dst_unused:UNUSED_PAD src0_sel:WORD_1 src1_sel:DWORD
	v_fma_f16 v16, v16, v52, v59
	v_mul_f16_sdwa v52, v18, v46 dst_sel:DWORD dst_unused:UNUSED_PAD src0_sel:WORD_1 src1_sel:DWORD
	v_fma_f16 v9, v17, v9, -v56
	s_waitcnt vmcnt(2)
	v_mul_f16_sdwa v56, v44, v20 dst_sel:DWORD dst_unused:UNUSED_PAD src0_sel:DWORD src1_sel:WORD_1
	v_fma_f16 v17, v17, v53, v58
	v_mul_f16_sdwa v53, v33, v20 dst_sel:DWORD dst_unused:UNUSED_PAD src0_sel:DWORD src1_sel:WORD_1
	v_fma_f16 v46, v18, v46, v51
	v_mul_f16_sdwa v51, v45, v21 dst_sel:DWORD dst_unused:UNUSED_PAD src0_sel:DWORD src1_sel:WORD_1
	v_fma_f16 v18, v18, v31, -v52
	v_mul_f16_sdwa v31, v34, v21 dst_sel:DWORD dst_unused:UNUSED_PAD src0_sel:DWORD src1_sel:WORD_1
	v_mul_f16_sdwa v52, v47, v22 dst_sel:DWORD dst_unused:UNUSED_PAD src0_sel:DWORD src1_sel:WORD_1
	v_mul_f16_sdwa v57, v32, v22 dst_sel:DWORD dst_unused:UNUSED_PAD src0_sel:DWORD src1_sel:WORD_1
	v_mul_f16_sdwa v58, v36, v19 dst_sel:DWORD dst_unused:UNUSED_PAD src0_sel:DWORD src1_sel:WORD_1
	v_fma_f16 v33, v33, v20, -v56
	v_fma_f16 v34, v34, v21, -v51
	v_mul_f16_sdwa v51, v48, v19 dst_sel:DWORD dst_unused:UNUSED_PAD src0_sel:DWORD src1_sel:WORD_1
	s_waitcnt vmcnt(1)
	v_mul_f16_sdwa v56, v37, v27 dst_sel:DWORD dst_unused:UNUSED_PAD src0_sel:DWORD src1_sel:WORD_1
	v_fma_f16 v32, v32, v22, -v52
	v_mul_f16_sdwa v52, v49, v27 dst_sel:DWORD dst_unused:UNUSED_PAD src0_sel:DWORD src1_sel:WORD_1
	v_mul_f16_sdwa v59, v41, v28 dst_sel:DWORD dst_unused:UNUSED_PAD src0_sel:DWORD src1_sel:WORD_1
	v_fma_f16 v20, v44, v20, v53
	v_mul_f16_sdwa v44, v54, v28 dst_sel:DWORD dst_unused:UNUSED_PAD src0_sel:DWORD src1_sel:WORD_1
	v_fma_f16 v21, v45, v21, v31
	s_waitcnt vmcnt(0)
	v_mul_f16_sdwa v31, v50, v29 dst_sel:DWORD dst_unused:UNUSED_PAD src0_sel:DWORD src1_sel:WORD_1
	v_fma_f16 v22, v47, v22, v57
	v_mul_f16_sdwa v45, v38, v29 dst_sel:DWORD dst_unused:UNUSED_PAD src0_sel:DWORD src1_sel:WORD_1
	v_fma_f16 v47, v48, v19, v58
	v_mul_f16_sdwa v48, v55, v30 dst_sel:DWORD dst_unused:UNUSED_PAD src0_sel:DWORD src1_sel:WORD_1
	v_fma_f16 v19, v36, v19, -v51
	v_fma_f16 v36, v49, v27, v56
	v_fma_f16 v49, v54, v28, v59
	v_fma_f16 v27, v37, v27, -v52
	v_fma_f16 v28, v41, v28, -v44
	;; [unrolled: 1-line block ×3, first 2 shown]
	v_mul_f16_sdwa v38, v42, v30 dst_sel:DWORD dst_unused:UNUSED_PAD src0_sel:DWORD src1_sel:WORD_1
	v_fma_f16 v37, v42, v30, -v48
	v_fma_f16 v30, v55, v30, v38
	v_add_f16_e32 v38, v39, v28
	v_add_f16_e32 v41, v40, v27
	v_sub_f16_e32 v27, v40, v27
	v_add_f16_e32 v40, v16, v36
	v_sub_f16_e32 v16, v16, v36
	;; [unrolled: 2-line block ×4, first 2 shown]
	v_add_f16_e32 v18, v17, v46
	v_add_f16_e32 v42, v41, v38
	v_sub_f16_e32 v44, v41, v38
	v_sub_f16_e32 v38, v38, v36
	v_sub_f16_e32 v41, v36, v41
	v_fma_f16 v29, v50, v29, v45
	v_sub_f16_e32 v15, v15, v49
	v_add_f16_e32 v36, v36, v42
	v_add_f16_e32 v42, v40, v39
	v_sub_f16_e32 v45, v40, v39
	v_sub_f16_e32 v39, v39, v18
	;; [unrolled: 1-line block ×3, first 2 shown]
	v_mul_f16_e32 v38, 0x3a52, v38
	v_mul_f16_e32 v49, 0x2b26, v41
	v_sub_f16_e32 v17, v46, v17
	v_add_f16_e32 v18, v18, v42
	v_add_f16_e32 v42, v9, v27
	v_sub_f16_e32 v46, v9, v27
	v_sub_f16_e32 v27, v27, v28
	v_fma_f16 v41, v41, s0, v38
	v_fma_f16 v49, v44, s1, -v49
	v_fma_f16 v38, v44, s5, -v38
	v_mul_f16_e32 v39, 0x3a52, v39
	v_mul_f16_e32 v44, 0x2b26, v40
	v_sub_f16_e32 v9, v28, v9
	v_add_f16_e32 v28, v42, v28
	v_add_f16_e32 v42, v17, v16
	v_sub_f16_e32 v48, v17, v16
	v_sub_f16_e32 v16, v16, v15
	v_fma_f16 v40, v40, s0, v39
	v_fma_f16 v44, v45, s1, -v44
	v_fma_f16 v39, v45, s5, -v39
	v_mul_f16_e32 v45, 0xb846, v46
	v_mul_f16_e32 v46, 0x3b00, v27
	v_sub_f16_e32 v17, v15, v17
	v_add_f16_e32 v15, v42, v15
	v_add_f16_e32 v42, v36, v35
	v_add_f16_sdwa v35, v18, v35 dst_sel:DWORD dst_unused:UNUSED_PAD src0_sel:DWORD src1_sel:WORD_1
	v_fma_f16 v27, v27, s4, -v45
	v_fma_f16 v45, v9, s7, v45
	v_fma_f16 v9, v9, s11, -v46
	v_mul_f16_e32 v46, 0xb846, v48
	v_mul_f16_e32 v48, 0x3b00, v16
	v_fma_f16 v16, v16, s4, -v46
	v_fma_f16 v46, v17, s7, v46
	v_fma_f16 v17, v17, s11, -v48
	v_fma_f16 v36, v36, s10, v42
	v_fma_f16 v18, v18, s10, v35
	v_add_f16_e32 v41, v41, v36
	v_add_f16_e32 v48, v49, v36
	;; [unrolled: 1-line block ×6, first 2 shown]
	v_fma_f16 v39, v28, s12, v45
	v_fma_f16 v27, v28, s12, v27
	;; [unrolled: 1-line block ×6, first 2 shown]
	v_add_f16_e32 v44, v27, v40
	v_sub_f16_e32 v27, v40, v27
	v_add_f16_e32 v40, v15, v36
	v_sub_f16_e32 v15, v36, v15
	v_sub_f16_e32 v36, v18, v9
	v_add_f16_e32 v9, v9, v18
	v_add_f16_e32 v18, v28, v41
	v_sub_f16_e32 v28, v41, v28
	v_sub_f16_e32 v41, v38, v39
	v_add_f16_e32 v38, v39, v38
	v_add_f16_e32 v39, v19, v37
	;; [unrolled: 1-line block ×3, first 2 shown]
	v_sub_f16_e32 v19, v19, v37
	v_add_f16_e32 v37, v47, v30
	v_sub_f16_e32 v31, v33, v31
	v_add_f16_e32 v33, v20, v29
	;; [unrolled: 2-line block ×5, first 2 shown]
	v_sub_f16_e32 v46, v45, v39
	v_sub_f16_e32 v39, v39, v29
	;; [unrolled: 1-line block ×3, first 2 shown]
	v_add_f16_e32 v22, v29, v22
	v_add_f16_e32 v29, v33, v37
	v_sub_f16_e32 v30, v47, v30
	v_sub_f16_e32 v47, v33, v37
	;; [unrolled: 1-line block ×4, first 2 shown]
	v_add_f16_e32 v29, v34, v29
	v_add_f16_e32 v34, v32, v31
	v_sub_f16_e32 v17, v48, v16
	v_add_f16_e32 v16, v16, v48
	v_sub_f16_e32 v48, v32, v31
	v_sub_f16_e32 v32, v19, v32
	;; [unrolled: 1-line block ×3, first 2 shown]
	v_add_f16_e32 v19, v34, v19
	v_add_f16_e32 v34, v21, v20
	v_sub_f16_e32 v49, v21, v20
	v_sub_f16_e32 v21, v30, v21
	;; [unrolled: 1-line block ×3, first 2 shown]
	v_add_f16_e32 v30, v34, v30
	v_mul_f16_e32 v34, 0x3a52, v39
	v_mul_f16_e32 v39, 0x2b26, v45
	v_fma_f16 v45, v45, s0, v34
	v_fma_f16 v39, v46, s1, -v39
	v_fma_f16 v34, v46, s5, -v34
	v_mul_f16_e32 v37, 0x3a52, v37
	v_mul_f16_e32 v46, 0x2b26, v33
	v_fma_f16 v33, v33, s0, v37
	v_fma_f16 v46, v47, s1, -v46
	v_fma_f16 v37, v47, s5, -v37
	v_mul_f16_e32 v47, 0xb846, v48
	v_mul_f16_e32 v48, 0x3b00, v31
	v_fma_f16 v31, v31, s4, -v47
	v_fma_f16 v47, v32, s7, v47
	v_fma_f16 v32, v32, s11, -v48
	v_mul_f16_e32 v48, 0xb846, v49
	v_mul_f16_e32 v49, 0x3b00, v20
	v_fma_f16 v20, v20, s4, -v48
	v_fma_f16 v48, v21, s7, v48
	v_fma_f16 v21, v21, s11, -v49
	v_add_f16_e32 v49, v22, v43
	v_fma_f16 v22, v22, s10, v49
	v_add_f16_e32 v45, v45, v22
	v_add_f16_e32 v39, v39, v22
	;; [unrolled: 1-line block ×3, first 2 shown]
	v_add_f16_sdwa v34, v29, v43 dst_sel:DWORD dst_unused:UNUSED_PAD src0_sel:DWORD src1_sel:WORD_1
	v_fma_f16 v29, v29, s10, v34
	v_add_f16_e32 v33, v33, v29
	v_add_f16_e32 v43, v46, v29
	;; [unrolled: 1-line block ×3, first 2 shown]
	v_fma_f16 v37, v19, s12, v47
	v_fma_f16 v31, v19, s12, v31
	v_fma_f16 v19, v19, s12, v32
	v_fma_f16 v32, v30, s12, v48
	v_fma_f16 v20, v30, s12, v20
	v_fma_f16 v21, v30, s12, v21
	v_sub_f16_e32 v30, v39, v20
	v_add_f16_e32 v20, v20, v39
	v_add_f16_e32 v39, v31, v43
	v_sub_f16_e32 v31, v43, v31
	v_add_f16_e32 v43, v21, v22
	v_sub_f16_e32 v21, v22, v21
	v_sub_f16_e32 v22, v29, v19
	v_add_f16_e32 v19, v19, v29
	v_add_f16_e32 v29, v32, v45
	v_sub_f16_e32 v32, v45, v32
	v_sub_f16_e32 v45, v33, v37
	v_add_f16_e32 v33, v37, v33
	v_mov_b32_e32 v37, 2
	v_lshlrev_b32_sdwa v8, v37, v8 dst_sel:DWORD dst_unused:UNUSED_PAD src0_sel:DWORD src1_sel:BYTE_0
	v_add3_u32 v7, 0, v7, v8
	v_pack_b32_f16 v8, v42, v35
	v_pack_b32_f16 v18, v18, v41
	ds_write2_b32 v7, v8, v18 offset1:9
	v_pack_b32_f16 v8, v40, v36
	v_pack_b32_f16 v17, v17, v44
	ds_write2_b32 v7, v8, v17 offset0:18 offset1:27
	v_pack_b32_f16 v8, v16, v27
	v_pack_b32_f16 v9, v15, v9
	ds_write2_b32 v7, v8, v9 offset0:36 offset1:45
	v_pack_b32_f16 v8, v28, v38
	v_lshlrev_b32_sdwa v6, v37, v6 dst_sel:DWORD dst_unused:UNUSED_PAD src0_sel:DWORD src1_sel:BYTE_0
	ds_write_b32 v7, v8 offset:216
	v_add3_u32 v5, 0, v5, v6
	v_pack_b32_f16 v6, v49, v34
	v_pack_b32_f16 v7, v29, v45
	ds_write2_b32 v5, v6, v7 offset1:9
	v_pack_b32_f16 v6, v43, v22
	v_pack_b32_f16 v7, v30, v39
	ds_write2_b32 v5, v6, v7 offset0:18 offset1:27
	v_pack_b32_f16 v6, v20, v31
	v_pack_b32_f16 v7, v21, v19
	ds_write2_b32 v5, v6, v7 offset0:36 offset1:45
	v_pack_b32_f16 v6, v32, v33
	ds_write_b32 v5, v6 offset:216
	v_mul_u32_u24_e32 v5, 6, v0
	v_lshlrev_b32_e32 v9, 2, v5
	s_waitcnt lgkmcnt(0)
	; wave barrier
	s_waitcnt lgkmcnt(0)
	global_load_dwordx4 v[5:8], v9, s[8:9] offset:216
	global_load_dwordx2 v[15:16], v9, s[8:9] offset:232
	ds_read2_b32 v[17:18], v23 offset1:189
	ds_read2_b32 v[19:20], v14 offset0:116 offset1:179
	ds_read2_b32 v[21:22], v12 offset0:126 offset1:252
	;; [unrolled: 1-line block ×5, first 2 shown]
	ds_read_b32 v33, v12 offset:1512
	ds_read_b32 v34, v10
	s_waitcnt lgkmcnt(5)
	v_lshrrev_b32_e32 v38, 16, v21
	s_waitcnt lgkmcnt(4)
	v_lshrrev_b32_e32 v37, 16, v28
	;; [unrolled: 2-line block ×3, first 2 shown]
	v_lshrrev_b32_e32 v36, 16, v30
	v_lshrrev_b32_e32 v9, 16, v19
	s_waitcnt lgkmcnt(0)
	; wave barrier
	s_waitcnt vmcnt(1) lgkmcnt(0)
	v_mul_f16_sdwa v39, v5, v38 dst_sel:DWORD dst_unused:UNUSED_PAD src0_sel:WORD_1 src1_sel:DWORD
	v_fma_f16 v39, v5, v21, -v39
	v_mul_f16_sdwa v21, v5, v21 dst_sel:DWORD dst_unused:UNUSED_PAD src0_sel:WORD_1 src1_sel:DWORD
	v_fma_f16 v21, v5, v38, v21
	v_lshrrev_b32_e32 v38, 16, v22
	v_mul_f16_sdwa v40, v6, v38 dst_sel:DWORD dst_unused:UNUSED_PAD src0_sel:WORD_1 src1_sel:DWORD
	v_fma_f16 v40, v6, v22, -v40
	v_mul_f16_sdwa v22, v6, v22 dst_sel:DWORD dst_unused:UNUSED_PAD src0_sel:WORD_1 src1_sel:DWORD
	v_mul_f16_sdwa v42, v35, v6 dst_sel:DWORD dst_unused:UNUSED_PAD src0_sel:DWORD src1_sel:WORD_1
	v_fma_f16 v22, v6, v38, v22
	v_lshrrev_b32_e32 v38, 16, v33
	v_fma_f16 v42, v29, v6, -v42
	v_mul_f16_sdwa v29, v29, v6 dst_sel:DWORD dst_unused:UNUSED_PAD src0_sel:DWORD src1_sel:WORD_1
	v_mul_f16_sdwa v41, v7, v38 dst_sel:DWORD dst_unused:UNUSED_PAD src0_sel:WORD_1 src1_sel:DWORD
	v_fma_f16 v6, v35, v6, v29
	v_mul_f16_sdwa v29, v36, v7 dst_sel:DWORD dst_unused:UNUSED_PAD src0_sel:DWORD src1_sel:WORD_1
	v_fma_f16 v41, v7, v33, -v41
	v_mul_f16_sdwa v33, v7, v33 dst_sel:DWORD dst_unused:UNUSED_PAD src0_sel:WORD_1 src1_sel:DWORD
	v_fma_f16 v29, v30, v7, -v29
	v_mul_f16_sdwa v30, v30, v7 dst_sel:DWORD dst_unused:UNUSED_PAD src0_sel:DWORD src1_sel:WORD_1
	v_fma_f16 v33, v7, v38, v33
	v_lshrrev_b32_e32 v38, 16, v27
	v_mul_f16_sdwa v35, v8, v27 dst_sel:DWORD dst_unused:UNUSED_PAD src0_sel:WORD_1 src1_sel:DWORD
	v_fma_f16 v7, v36, v7, v30
	v_mul_f16_sdwa v30, v37, v8 dst_sel:DWORD dst_unused:UNUSED_PAD src0_sel:DWORD src1_sel:WORD_1
	v_fma_f16 v35, v8, v38, v35
	v_mul_f16_sdwa v38, v8, v38 dst_sel:DWORD dst_unused:UNUSED_PAD src0_sel:WORD_1 src1_sel:DWORD
	v_fma_f16 v30, v28, v8, -v30
	v_mul_f16_sdwa v28, v28, v8 dst_sel:DWORD dst_unused:UNUSED_PAD src0_sel:DWORD src1_sel:WORD_1
	v_fma_f16 v27, v8, v27, -v38
	v_lshrrev_b32_e32 v36, 16, v18
	v_fma_f16 v8, v37, v8, v28
	v_mul_f16_sdwa v28, v18, v5 dst_sel:DWORD dst_unused:UNUSED_PAD src0_sel:DWORD src1_sel:WORD_1
	v_fma_f16 v28, v36, v5, v28
	v_mul_f16_sdwa v36, v36, v5 dst_sel:DWORD dst_unused:UNUSED_PAD src0_sel:DWORD src1_sel:WORD_1
	v_fma_f16 v5, v18, v5, -v36
	v_lshrrev_b32_e32 v36, 16, v31
	s_waitcnt vmcnt(0)
	v_mul_f16_sdwa v37, v15, v36 dst_sel:DWORD dst_unused:UNUSED_PAD src0_sel:WORD_1 src1_sel:DWORD
	v_lshrrev_b32_e32 v18, 16, v32
	v_fma_f16 v37, v15, v31, -v37
	v_mul_f16_sdwa v31, v15, v31 dst_sel:DWORD dst_unused:UNUSED_PAD src0_sel:WORD_1 src1_sel:DWORD
	v_fma_f16 v31, v15, v36, v31
	v_mul_f16_sdwa v36, v18, v15 dst_sel:DWORD dst_unused:UNUSED_PAD src0_sel:DWORD src1_sel:WORD_1
	v_fma_f16 v36, v32, v15, -v36
	v_mul_f16_sdwa v32, v32, v15 dst_sel:DWORD dst_unused:UNUSED_PAD src0_sel:DWORD src1_sel:WORD_1
	v_fma_f16 v15, v18, v15, v32
	v_mul_f16_sdwa v18, v19, v16 dst_sel:DWORD dst_unused:UNUSED_PAD src0_sel:DWORD src1_sel:WORD_1
	v_lshrrev_b32_e32 v38, 16, v20
	v_fma_f16 v18, v9, v16, v18
	v_mul_f16_sdwa v9, v9, v16 dst_sel:DWORD dst_unused:UNUSED_PAD src0_sel:DWORD src1_sel:WORD_1
	v_fma_f16 v9, v19, v16, -v9
	v_mul_f16_sdwa v19, v38, v16 dst_sel:DWORD dst_unused:UNUSED_PAD src0_sel:DWORD src1_sel:WORD_1
	v_fma_f16 v19, v20, v16, -v19
	v_mul_f16_sdwa v20, v20, v16 dst_sel:DWORD dst_unused:UNUSED_PAD src0_sel:DWORD src1_sel:WORD_1
	v_fma_f16 v16, v38, v16, v20
	v_add_f16_e32 v20, v39, v9
	v_add_f16_e32 v32, v21, v18
	v_sub_f16_e32 v18, v21, v18
	v_add_f16_e32 v21, v40, v37
	v_add_f16_e32 v38, v22, v31
	v_sub_f16_e32 v22, v22, v31
	v_add_f16_e32 v31, v41, v27
	v_sub_f16_e32 v9, v39, v9
	v_sub_f16_e32 v37, v40, v37
	v_add_f16_e32 v39, v33, v35
	v_sub_f16_e32 v27, v27, v41
	v_sub_f16_e32 v33, v35, v33
	v_add_f16_e32 v35, v21, v20
	v_add_f16_e32 v40, v38, v32
	v_sub_f16_e32 v41, v21, v20
	v_sub_f16_e32 v20, v20, v31
	;; [unrolled: 1-line block ×3, first 2 shown]
	v_add_f16_e32 v31, v31, v35
	v_sub_f16_e32 v35, v38, v32
	v_sub_f16_e32 v32, v32, v39
	;; [unrolled: 1-line block ×3, first 2 shown]
	v_add_f16_e32 v39, v39, v40
	v_add_f16_e32 v40, v27, v37
	v_mul_f16_e32 v20, 0x3a52, v20
	v_mul_f16_e32 v45, 0x2b26, v21
	v_sub_f16_e32 v43, v27, v37
	v_sub_f16_e32 v27, v9, v27
	;; [unrolled: 1-line block ×3, first 2 shown]
	v_add_f16_e32 v9, v40, v9
	v_add_f16_e32 v40, v33, v22
	v_fma_f16 v21, v21, s0, v20
	v_fma_f16 v45, v41, s1, -v45
	v_fma_f16 v20, v41, s5, -v20
	v_mul_f16_e32 v32, 0x3a52, v32
	v_mul_f16_e32 v41, 0x2b26, v38
	v_sub_f16_e32 v44, v33, v22
	v_sub_f16_e32 v33, v18, v33
	;; [unrolled: 1-line block ×3, first 2 shown]
	v_add_f16_e32 v18, v40, v18
	v_add_f16_e32 v40, v31, v17
	v_fma_f16 v38, v38, s0, v32
	v_fma_f16 v41, v35, s1, -v41
	v_fma_f16 v32, v35, s5, -v32
	v_mul_f16_e32 v35, 0xb846, v43
	v_mul_f16_e32 v43, 0x3b00, v37
	v_add_f16_sdwa v17, v39, v17 dst_sel:DWORD dst_unused:UNUSED_PAD src0_sel:DWORD src1_sel:WORD_1
	v_fma_f16 v37, v37, s4, -v35
	v_fma_f16 v35, v27, s7, v35
	v_fma_f16 v27, v27, s11, -v43
	v_mul_f16_e32 v43, 0xb846, v44
	v_mul_f16_e32 v44, 0x3b00, v22
	v_fma_f16 v31, v31, s10, v40
	v_fma_f16 v22, v22, s4, -v43
	v_fma_f16 v43, v33, s7, v43
	v_fma_f16 v33, v33, s11, -v44
	v_add_f16_e32 v21, v21, v31
	v_add_f16_e32 v44, v45, v31
	;; [unrolled: 1-line block ×3, first 2 shown]
	v_fma_f16 v31, v39, s10, v17
	v_add_f16_e32 v38, v38, v31
	v_add_f16_e32 v39, v41, v31
	;; [unrolled: 1-line block ×3, first 2 shown]
	v_fma_f16 v32, v9, s12, v35
	v_fma_f16 v35, v18, s12, v43
	;; [unrolled: 1-line block ×6, first 2 shown]
	v_add_f16_e32 v27, v35, v21
	v_sub_f16_e32 v33, v38, v32
	v_add_f16_e32 v43, v37, v39
	v_sub_f16_e32 v37, v39, v37
	;; [unrolled: 2-line block ×3, first 2 shown]
	v_sub_f16_e32 v20, v31, v9
	v_add_f16_e32 v9, v9, v31
	v_sub_f16_e32 v21, v21, v35
	v_add_f16_e32 v31, v32, v38
	v_add_f16_e32 v32, v5, v19
	;; [unrolled: 1-line block ×3, first 2 shown]
	v_sub_f16_e32 v5, v5, v19
	v_sub_f16_e32 v16, v28, v16
	v_add_f16_e32 v19, v42, v36
	v_add_f16_e32 v28, v6, v15
	v_sub_f16_e32 v36, v42, v36
	v_sub_f16_e32 v6, v6, v15
	v_add_f16_e32 v15, v29, v30
	v_add_f16_e32 v38, v7, v8
	;; [unrolled: 4-line block ×3, first 2 shown]
	v_sub_f16_e32 v42, v19, v32
	v_sub_f16_e32 v32, v32, v15
	;; [unrolled: 1-line block ×3, first 2 shown]
	v_add_f16_e32 v8, v15, v8
	v_sub_f16_e32 v15, v28, v35
	v_sub_f16_e32 v35, v35, v38
	v_sub_f16_e32 v28, v38, v28
	v_add_f16_e32 v30, v38, v30
	v_add_f16_e32 v38, v29, v36
	v_sub_f16_e32 v41, v44, v22
	v_add_f16_e32 v22, v22, v44
	v_sub_f16_e32 v44, v29, v36
	v_sub_f16_e32 v29, v5, v29
	;; [unrolled: 1-line block ×3, first 2 shown]
	v_add_f16_e32 v5, v38, v5
	v_add_f16_e32 v38, v7, v6
	v_sub_f16_e32 v45, v7, v6
	v_sub_f16_e32 v7, v16, v7
	;; [unrolled: 1-line block ×3, first 2 shown]
	v_add_f16_e32 v16, v38, v16
	v_mul_f16_e32 v32, 0x3a52, v32
	v_mul_f16_e32 v38, 0x2b26, v19
	v_fma_f16 v19, v19, s0, v32
	v_fma_f16 v38, v42, s1, -v38
	v_fma_f16 v32, v42, s5, -v32
	v_mul_f16_e32 v35, 0x3a52, v35
	v_mul_f16_e32 v42, 0x2b26, v28
	v_fma_f16 v28, v28, s0, v35
	v_fma_f16 v42, v15, s1, -v42
	v_fma_f16 v15, v15, s5, -v35
	v_mul_f16_e32 v35, 0xb846, v44
	v_mul_f16_e32 v44, 0x3b00, v36
	v_fma_f16 v36, v36, s4, -v35
	v_fma_f16 v35, v29, s7, v35
	v_fma_f16 v29, v29, s11, -v44
	v_mul_f16_e32 v44, 0xb846, v45
	v_mul_f16_e32 v45, 0x3b00, v6
	v_fma_f16 v6, v6, s4, -v44
	v_fma_f16 v44, v7, s7, v44
	v_fma_f16 v7, v7, s11, -v45
	v_add_f16_e32 v45, v8, v34
	v_fma_f16 v8, v8, s10, v45
	v_add_f16_e32 v19, v19, v8
	v_add_f16_e32 v38, v38, v8
	;; [unrolled: 1-line block ×3, first 2 shown]
	v_add_f16_sdwa v32, v30, v34 dst_sel:DWORD dst_unused:UNUSED_PAD src0_sel:DWORD src1_sel:WORD_1
	v_pack_b32_f16 v17, v40, v17
	v_pack_b32_f16 v27, v27, v33
	v_fma_f16 v30, v30, s10, v32
	ds_write2_b32 v23, v17, v27 offset1:63
	v_pack_b32_f16 v17, v39, v20
	v_pack_b32_f16 v20, v41, v43
	v_add_f16_e32 v28, v28, v30
	v_add_f16_e32 v34, v42, v30
	;; [unrolled: 1-line block ×3, first 2 shown]
	v_fma_f16 v30, v5, s12, v35
	v_fma_f16 v35, v16, s12, v44
	;; [unrolled: 1-line block ×6, first 2 shown]
	ds_write2_b32 v23, v17, v20 offset0:126 offset1:189
	v_pack_b32_f16 v17, v22, v37
	v_pack_b32_f16 v9, v18, v9
	v_add_f16_e32 v16, v35, v19
	v_sub_f16_e32 v29, v38, v6
	v_add_f16_e32 v6, v6, v38
	v_add_f16_e32 v38, v36, v34
	v_sub_f16_e32 v34, v34, v36
	v_add_f16_e32 v36, v7, v8
	v_sub_f16_e32 v7, v8, v7
	v_sub_f16_e32 v8, v15, v5
	v_add_f16_e32 v5, v5, v15
	v_sub_f16_e32 v15, v28, v30
	ds_write2_b32 v1, v17, v9 offset0:124 offset1:187
	v_pack_b32_f16 v1, v21, v31
	v_pack_b32_f16 v9, v45, v32
	ds_write2_b32 v25, v1, v9 offset0:122 offset1:185
	v_pack_b32_f16 v1, v16, v15
	v_pack_b32_f16 v8, v36, v8
	v_sub_f16_e32 v19, v19, v35
	v_add_f16_e32 v28, v30, v28
	ds_write2_b32 v26, v1, v8 offset0:120 offset1:183
	v_pack_b32_f16 v1, v29, v38
	v_pack_b32_f16 v6, v6, v34
	ds_write2_b32 v24, v1, v6 offset0:118 offset1:181
	v_pack_b32_f16 v1, v7, v5
	v_pack_b32_f16 v5, v19, v28
	ds_write2_b32 v14, v1, v5 offset0:116 offset1:179
	v_mov_b32_e32 v1, 0
	v_lshlrev_b64 v[6:7], 2, v[0:1]
	v_mov_b32_e32 v15, s9
	v_add_co_u32_e64 v8, s[0:1], s8, v6
	v_addc_co_u32_e64 v9, s[0:1], v15, v7, s[0:1]
	s_waitcnt lgkmcnt(0)
	; wave barrier
	s_waitcnt lgkmcnt(0)
	global_load_dword v27, v[8:9], off offset:1728
	global_load_dword v28, v[8:9], off offset:2232
	global_load_dword v29, v[8:9], off offset:2484
	v_mov_b32_e32 v5, v1
	v_lshlrev_b64 v[4:5], 2, v[4:5]
	global_load_dword v1, v[8:9], off offset:2736
	v_add_co_u32_e64 v4, s[0:1], s8, v4
	v_addc_co_u32_e64 v5, s[0:1], v15, v5, s[0:1]
	global_load_dword v30, v[4:5], off offset:1728
	global_load_dword v31, v[8:9], off offset:2988
	;; [unrolled: 1-line block ×3, first 2 shown]
	ds_read2_b32 v[15:16], v23 offset1:189
	ds_read2_b32 v[17:18], v25 offset0:59 offset1:185
	ds_read_b32 v33, v10
	ds_read2_b32 v[19:20], v26 offset0:120 offset1:183
	ds_read2_b32 v[21:22], v12 offset0:126 offset1:252
	;; [unrolled: 1-line block ×3, first 2 shown]
	ds_read_u16 v26, v23 offset:2774
	ds_read_b32 v34, v12 offset:1512
	v_cmp_ne_u32_e64 s[0:1], 0, v0
	s_waitcnt vmcnt(6) lgkmcnt(6)
	v_pk_mul_f16 v35, v27, v18 op_sel:[0,1]
	v_pk_fma_f16 v36, v27, v18, v35 op_sel:[0,0,1] op_sel_hi:[1,1,0] neg_lo:[0,0,1] neg_hi:[0,0,1]
	v_pk_fma_f16 v18, v27, v18, v35 op_sel:[0,0,1] op_sel_hi:[1,0,0]
	v_bfi_b32 v18, s6, v36, v18
	v_pk_add_f16 v18, v15, v18 neg_lo:[0,1] neg_hi:[0,1]
	v_pk_fma_f16 v27, v15, 2.0, v18 op_sel_hi:[1,0,1] neg_lo:[0,0,1] neg_hi:[0,0,1]
	s_waitcnt vmcnt(5) lgkmcnt(4)
	v_pk_mul_f16 v15, v28, v20 op_sel:[0,1]
	v_pk_fma_f16 v35, v28, v20, v15 op_sel:[0,0,1] op_sel_hi:[1,1,0] neg_lo:[0,0,1] neg_hi:[0,0,1]
	v_pk_fma_f16 v15, v28, v20, v15 op_sel:[0,0,1] op_sel_hi:[1,0,0]
	v_bfi_b32 v15, s6, v35, v15
	s_waitcnt lgkmcnt(3)
	v_pk_add_f16 v20, v21, v15 neg_lo:[0,1] neg_hi:[0,1]
	s_waitcnt vmcnt(4) lgkmcnt(2)
	v_pk_mul_f16 v15, v29, v24 op_sel:[0,1]
	v_pk_fma_f16 v28, v29, v24, v15 op_sel:[0,0,1] op_sel_hi:[1,1,0] neg_lo:[0,0,1] neg_hi:[0,0,1]
	v_pk_fma_f16 v15, v29, v24, v15 op_sel:[0,0,1] op_sel_hi:[1,0,0]
	v_bfi_b32 v15, s6, v28, v15
	v_pk_add_f16 v24, v16, v15 neg_lo:[0,1] neg_hi:[0,1]
	ds_read2_b32 v[14:15], v14 offset0:116 offset1:179
	s_waitcnt vmcnt(3) lgkmcnt(2)
	v_pk_mul_f16 v26, v26, v1 op_sel_hi:[0,1]
	v_pk_fma_f16 v28, v1, v25, v26 op_sel:[0,0,1] op_sel_hi:[1,1,0] neg_lo:[0,0,1] neg_hi:[0,0,1]
	v_pk_fma_f16 v1, v1, v25, v26 op_sel:[0,0,1] op_sel_hi:[1,0,0]
	v_bfi_b32 v1, s6, v28, v1
	s_waitcnt vmcnt(1) lgkmcnt(0)
	v_pk_mul_f16 v25, v14, v31 op_sel:[0,1]
	v_pk_fma_f16 v26, v14, v31, v25 op_sel:[0,0,1] op_sel_hi:[1,1,0] neg_lo:[0,0,1] neg_hi:[0,0,1]
	v_pk_fma_f16 v14, v14, v31, v25 op_sel:[0,0,1] op_sel_hi:[1,0,0]
	s_waitcnt vmcnt(0)
	v_pk_mul_f16 v25, v15, v32 op_sel:[0,1]
	v_bfi_b32 v14, s6, v26, v14
	v_pk_fma_f16 v26, v15, v32, v25 op_sel:[0,0,1] op_sel_hi:[1,1,0] neg_lo:[0,0,1] neg_hi:[0,0,1]
	v_pk_fma_f16 v15, v15, v32, v25 op_sel:[0,0,1] op_sel_hi:[1,0,0]
	v_bfi_b32 v15, s6, v26, v15
	v_pk_mul_f16 v26, v30, v19 op_sel:[0,1]
	v_pk_fma_f16 v28, v30, v19, v26 op_sel:[0,0,1] op_sel_hi:[1,1,0] neg_lo:[0,0,1] neg_hi:[0,0,1]
	v_pk_fma_f16 v19, v30, v19, v26 op_sel:[0,0,1] op_sel_hi:[1,0,0]
	v_bfi_b32 v19, s6, v28, v19
	v_pk_fma_f16 v16, v16, 2.0, v24 op_sel_hi:[1,0,1] neg_lo:[0,0,1] neg_hi:[0,0,1]
	v_pk_add_f16 v1, v22, v1 neg_lo:[0,1] neg_hi:[0,1]
	v_pk_add_f16 v14, v17, v14 neg_lo:[0,1] neg_hi:[0,1]
	v_pk_add_f16 v15, v34, v15 neg_lo:[0,1] neg_hi:[0,1]
	v_pk_add_f16 v19, v33, v19 neg_lo:[0,1] neg_hi:[0,1]
	v_pk_fma_f16 v21, v21, 2.0, v20 op_sel_hi:[1,0,1] neg_lo:[0,0,1] neg_hi:[0,0,1]
	v_pk_fma_f16 v22, v22, 2.0, v1 op_sel_hi:[1,0,1] neg_lo:[0,0,1] neg_hi:[0,0,1]
	;; [unrolled: 1-line block ×5, first 2 shown]
	s_waitcnt lgkmcnt(0)
	; wave barrier
	ds_write_b32 v23, v27
	ds_write_b32 v23, v18 offset:1764
	ds_write_b32 v10, v26
	ds_write_b32 v10, v19 offset:1764
	ds_write_b32 v12, v21 offset:504
	;; [unrolled: 1-line block ×11, first 2 shown]
	s_waitcnt lgkmcnt(0)
	; wave barrier
	s_waitcnt lgkmcnt(0)
	ds_read_b32 v16, v23
	v_lshlrev_b32_e32 v1, 2, v0
	v_sub_u32_e32 v1, 0, v1
                                        ; implicit-def: $vgpr15
                                        ; implicit-def: $vgpr12
                                        ; implicit-def: $vgpr14
	s_and_saveexec_b64 s[4:5], s[0:1]
	s_xor_b64 s[0:1], exec, s[4:5]
	s_cbranch_execz .LBB0_17
; %bb.16:
	global_load_dword v8, v[8:9], off offset:3492
	ds_read_b32 v9, v1 offset:3528
	s_mov_b32 s4, 0xffff
	s_waitcnt lgkmcnt(0)
	v_pk_add_f16 v12, v16, v9 neg_lo:[0,1] neg_hi:[0,1]
	v_pk_add_f16 v9, v9, v16
	v_bfi_b32 v14, s4, v12, v9
	v_bfi_b32 v9, s4, v9, v12
	v_pk_mul_f16 v12, v14, 0.5 op_sel_hi:[1,0]
	v_pk_mul_f16 v14, v9, 0.5 op_sel_hi:[1,0]
                                        ; implicit-def: $vgpr16
	s_waitcnt vmcnt(0)
	v_pk_mul_f16 v15, v8, v12 op_sel:[1,0]
	v_pk_mul_f16 v8, v8, v12 op_sel_hi:[0,1]
	v_pk_fma_f16 v9, v9, 0.5, v15 op_sel_hi:[1,0,1]
	v_sub_f16_e32 v12, v14, v15
	v_sub_f16_sdwa v14, v15, v14 dst_sel:DWORD dst_unused:UNUSED_PAD src0_sel:WORD_1 src1_sel:WORD_1
	v_pk_add_f16 v15, v9, v8 op_sel:[0,1] op_sel_hi:[1,0]
	v_pk_add_f16 v9, v9, v8 op_sel:[0,1] op_sel_hi:[1,0] neg_lo:[0,1] neg_hi:[0,1]
	v_sub_f16_sdwa v12, v12, v8 dst_sel:DWORD dst_unused:UNUSED_PAD src0_sel:DWORD src1_sel:WORD_1
	v_bfi_b32 v15, s4, v15, v9
	v_sub_f16_e32 v14, v14, v8
.LBB0_17:
	s_or_saveexec_b64 s[0:1], s[0:1]
	v_sub_u32_e32 v8, 0, v13
	s_xor_b64 exec, exec, s[0:1]
	s_cbranch_execz .LBB0_19
; %bb.18:
	v_mov_b32_e32 v14, 0
	ds_read_u16 v9, v14 offset:1766
	s_waitcnt lgkmcnt(1)
	v_alignbit_b32 v13, s0, v16, 16
	v_pk_add_f16 v13, v13, v16
	v_sub_f16_sdwa v12, v16, v16 dst_sel:DWORD dst_unused:UNUSED_PAD src0_sel:DWORD src1_sel:WORD_1
	v_pack_b32_f16 v15, v13, 0
	s_waitcnt lgkmcnt(0)
	v_xor_b32_e32 v9, 0x8000, v9
	ds_write_b16 v14, v9 offset:1766
.LBB0_19:
	s_or_b64 exec, exec, s[0:1]
	global_load_dword v9, v[4:5], off offset:3492
	s_add_u32 s0, s8, 0xda4
	s_addc_u32 s1, s9, 0
	v_mov_b32_e32 v5, s1
	v_add_co_u32_e64 v4, s[0:1], s0, v6
	v_addc_co_u32_e64 v5, s[0:1], v5, v7, s[0:1]
	global_load_dword v13, v[4:5], off offset:504
	s_waitcnt lgkmcnt(0)
	global_load_dword v16, v[4:5], off offset:756
	ds_write_b16 v1, v14 offset:3530
	ds_write_b32 v23, v15
	ds_write_b16 v1, v12 offset:3528
	ds_read_b32 v12, v10
	ds_read_b32 v14, v1 offset:3276
	global_load_dword v15, v[4:5], off offset:1008
	s_mov_b32 s0, 0xffff
	v_add_u32_e32 v8, v11, v8
	s_waitcnt lgkmcnt(0)
	v_pk_add_f16 v11, v12, v14 neg_lo:[0,1] neg_hi:[0,1]
	v_pk_add_f16 v12, v12, v14
	v_bfi_b32 v14, s0, v11, v12
	v_bfi_b32 v11, s0, v12, v11
	v_pk_mul_f16 v12, v14, 0.5 op_sel_hi:[1,0]
	v_pk_mul_f16 v11, v11, 0.5 op_sel_hi:[1,0]
	s_waitcnt vmcnt(3)
	v_pk_fma_f16 v14, v9, v12, v11 op_sel:[1,0,0]
	v_pk_mul_f16 v17, v9, v12 op_sel_hi:[0,1]
	v_pk_fma_f16 v18, v9, v12, v11 op_sel:[1,0,0] neg_lo:[1,0,0] neg_hi:[1,0,0]
	v_pk_fma_f16 v9, v9, v12, v11 op_sel:[1,0,0] neg_lo:[0,0,1] neg_hi:[0,0,1]
	v_pk_add_f16 v11, v14, v17 op_sel:[0,1] op_sel_hi:[1,0]
	v_pk_add_f16 v12, v14, v17 op_sel:[0,1] op_sel_hi:[1,0] neg_lo:[0,1] neg_hi:[0,1]
	v_pk_add_f16 v14, v18, v17 op_sel:[0,1] op_sel_hi:[1,0] neg_lo:[0,1] neg_hi:[0,1]
	;; [unrolled: 1-line block ×3, first 2 shown]
	v_bfi_b32 v11, s0, v11, v12
	v_bfi_b32 v9, s0, v14, v9
	ds_write_b32 v10, v11
	ds_write_b32 v1, v9 offset:3276
	ds_read_b32 v9, v8 offset:504
	ds_read_b32 v10, v1 offset:3024
	global_load_dword v11, v[4:5], off offset:1260
	global_load_dword v12, v[4:5], off offset:1512
	s_waitcnt lgkmcnt(0)
	v_pk_add_f16 v4, v9, v10 neg_lo:[0,1] neg_hi:[0,1]
	v_pk_add_f16 v5, v9, v10
	v_bfi_b32 v9, s0, v4, v5
	v_bfi_b32 v4, s0, v5, v4
	v_pk_mul_f16 v5, v9, 0.5 op_sel_hi:[1,0]
	v_pk_mul_f16 v9, v4, 0.5 op_sel_hi:[1,0]
	s_waitcnt vmcnt(4)
	v_pk_mul_f16 v10, v13, v5 op_sel:[1,0]
	v_pk_mul_f16 v5, v13, v5 op_sel_hi:[0,1]
	v_pk_fma_f16 v4, v4, 0.5, v10 op_sel_hi:[1,0,1]
	v_sub_f16_e32 v13, v9, v10
	v_sub_f16_sdwa v9, v10, v9 dst_sel:DWORD dst_unused:UNUSED_PAD src0_sel:WORD_1 src1_sel:WORD_1
	v_pk_add_f16 v10, v4, v5 op_sel:[0,1] op_sel_hi:[1,0]
	v_pk_add_f16 v4, v4, v5 op_sel:[0,1] op_sel_hi:[1,0] neg_lo:[0,1] neg_hi:[0,1]
	v_sub_f16_sdwa v13, v13, v5 dst_sel:DWORD dst_unused:UNUSED_PAD src0_sel:DWORD src1_sel:WORD_1
	v_sub_f16_e32 v5, v9, v5
	v_bfi_b32 v4, s0, v10, v4
	ds_write_b16 v1, v5 offset:3026
	ds_write_b32 v8, v4 offset:504
	ds_write_b16 v1, v13 offset:3024
	ds_read_b32 v4, v23 offset:756
	ds_read_b32 v5, v1 offset:2772
	s_waitcnt lgkmcnt(0)
	v_pk_add_f16 v9, v4, v5 neg_lo:[0,1] neg_hi:[0,1]
	v_pk_add_f16 v4, v4, v5
	v_bfi_b32 v5, s0, v9, v4
	v_bfi_b32 v4, s0, v4, v9
	v_pk_mul_f16 v5, v5, 0.5 op_sel_hi:[1,0]
	v_pk_mul_f16 v9, v4, 0.5 op_sel_hi:[1,0]
	s_waitcnt vmcnt(3)
	v_pk_mul_f16 v10, v16, v5 op_sel:[1,0]
	v_pk_mul_f16 v5, v16, v5 op_sel_hi:[0,1]
	v_pk_fma_f16 v4, v4, 0.5, v10 op_sel_hi:[1,0,1]
	v_sub_f16_e32 v13, v9, v10
	v_sub_f16_sdwa v9, v10, v9 dst_sel:DWORD dst_unused:UNUSED_PAD src0_sel:WORD_1 src1_sel:WORD_1
	v_pk_add_f16 v10, v4, v5 op_sel:[0,1] op_sel_hi:[1,0]
	v_pk_add_f16 v4, v4, v5 op_sel:[0,1] op_sel_hi:[1,0] neg_lo:[0,1] neg_hi:[0,1]
	v_sub_f16_sdwa v13, v13, v5 dst_sel:DWORD dst_unused:UNUSED_PAD src0_sel:DWORD src1_sel:WORD_1
	v_sub_f16_e32 v5, v9, v5
	v_bfi_b32 v4, s0, v10, v4
	ds_write_b16 v1, v5 offset:2774
	ds_write_b32 v23, v4 offset:756
	ds_write_b16 v1, v13 offset:2772
	ds_read_b32 v4, v8 offset:1008
	ds_read_b32 v5, v1 offset:2520
	;; [unrolled: 23-line block ×3, first 2 shown]
	s_waitcnt lgkmcnt(0)
	v_pk_add_f16 v9, v4, v5 neg_lo:[0,1] neg_hi:[0,1]
	v_pk_add_f16 v4, v4, v5
	v_bfi_b32 v5, s0, v9, v4
	v_bfi_b32 v4, s0, v4, v9
	v_pk_mul_f16 v5, v5, 0.5 op_sel_hi:[1,0]
	v_pk_mul_f16 v4, v4, 0.5 op_sel_hi:[1,0]
	s_waitcnt vmcnt(1)
	v_pk_fma_f16 v9, v11, v5, v4 op_sel:[1,0,0]
	v_pk_mul_f16 v10, v11, v5 op_sel_hi:[0,1]
	v_pk_fma_f16 v13, v11, v5, v4 op_sel:[1,0,0] neg_lo:[1,0,0] neg_hi:[1,0,0]
	v_pk_fma_f16 v4, v11, v5, v4 op_sel:[1,0,0] neg_lo:[0,0,1] neg_hi:[0,0,1]
	v_pk_add_f16 v5, v9, v10 op_sel:[0,1] op_sel_hi:[1,0]
	v_pk_add_f16 v9, v9, v10 op_sel:[0,1] op_sel_hi:[1,0] neg_lo:[0,1] neg_hi:[0,1]
	v_pk_add_f16 v11, v13, v10 op_sel:[0,1] op_sel_hi:[1,0] neg_lo:[0,1] neg_hi:[0,1]
	;; [unrolled: 1-line block ×3, first 2 shown]
	v_bfi_b32 v5, s0, v5, v9
	v_bfi_b32 v4, s0, v11, v4
	ds_write_b32 v23, v5 offset:1260
	ds_write_b32 v1, v4 offset:2268
	ds_read_b32 v4, v8 offset:1512
	ds_read_b32 v5, v1 offset:2016
	s_waitcnt lgkmcnt(0)
	v_pk_add_f16 v9, v4, v5 neg_lo:[0,1] neg_hi:[0,1]
	v_pk_add_f16 v4, v4, v5
	v_bfi_b32 v5, s0, v9, v4
	v_bfi_b32 v4, s0, v4, v9
	v_pk_mul_f16 v5, v5, 0.5 op_sel_hi:[1,0]
	v_pk_mul_f16 v4, v4, 0.5 op_sel_hi:[1,0]
	s_waitcnt vmcnt(0)
	v_pk_fma_f16 v9, v12, v5, v4 op_sel:[1,0,0]
	v_pk_mul_f16 v10, v12, v5 op_sel_hi:[0,1]
	v_pk_fma_f16 v11, v12, v5, v4 op_sel:[1,0,0] neg_lo:[1,0,0] neg_hi:[1,0,0]
	v_pk_fma_f16 v4, v12, v5, v4 op_sel:[1,0,0] neg_lo:[0,0,1] neg_hi:[0,0,1]
	v_pk_add_f16 v5, v9, v10 op_sel:[0,1] op_sel_hi:[1,0]
	v_pk_add_f16 v9, v9, v10 op_sel:[0,1] op_sel_hi:[1,0] neg_lo:[0,1] neg_hi:[0,1]
	v_pk_add_f16 v11, v11, v10 op_sel:[0,1] op_sel_hi:[1,0] neg_lo:[0,1] neg_hi:[0,1]
	;; [unrolled: 1-line block ×3, first 2 shown]
	v_bfi_b32 v5, s0, v5, v9
	v_bfi_b32 v4, s0, v11, v4
	ds_write_b32 v8, v5 offset:1512
	ds_write_b32 v1, v4 offset:2016
	s_waitcnt lgkmcnt(0)
	; wave barrier
	s_waitcnt lgkmcnt(0)
	s_and_saveexec_b64 s[0:1], vcc
	s_cbranch_execz .LBB0_22
; %bb.20:
	ds_read2_b32 v[4:5], v23 offset1:63
	v_mov_b32_e32 v8, s3
	v_add_co_u32_e32 v1, vcc, s2, v2
	v_addc_co_u32_e32 v2, vcc, v8, v3, vcc
	v_add_co_u32_e32 v6, vcc, v1, v6
	v_addc_co_u32_e32 v7, vcc, v2, v7, vcc
	s_waitcnt lgkmcnt(0)
	global_store_dword v[6:7], v4, off
	global_store_dword v[6:7], v5, off offset:252
	ds_read2_b32 v[3:4], v23 offset0:126 offset1:189
	v_add_u32_e32 v5, 0x200, v23
	ds_read2_b32 v[8:9], v5 offset0:124 offset1:187
	v_add_u32_e32 v5, 0x400, v23
	ds_read2_b32 v[10:11], v5 offset0:122 offset1:185
	s_waitcnt lgkmcnt(2)
	global_store_dword v[6:7], v3, off offset:504
	global_store_dword v[6:7], v4, off offset:756
	s_waitcnt lgkmcnt(1)
	global_store_dword v[6:7], v8, off offset:1008
	global_store_dword v[6:7], v9, off offset:1260
	;; [unrolled: 3-line block ×3, first 2 shown]
	v_add_u32_e32 v3, 0x600, v23
	ds_read2_b32 v[3:4], v3 offset0:120 offset1:183
	v_add_u32_e32 v5, 0x800, v23
	ds_read2_b32 v[8:9], v5 offset0:118 offset1:181
	;; [unrolled: 2-line block ×3, first 2 shown]
	v_cmp_eq_u32_e32 vcc, 62, v0
	s_waitcnt lgkmcnt(2)
	global_store_dword v[6:7], v3, off offset:2016
	global_store_dword v[6:7], v4, off offset:2268
	s_waitcnt lgkmcnt(1)
	global_store_dword v[6:7], v8, off offset:2520
	global_store_dword v[6:7], v9, off offset:2772
	;; [unrolled: 3-line block ×3, first 2 shown]
	s_and_b64 exec, exec, vcc
	s_cbranch_execz .LBB0_22
; %bb.21:
	v_mov_b32_e32 v0, 0
	ds_read_b32 v0, v0 offset:3528
	s_waitcnt lgkmcnt(0)
	global_store_dword v[1:2], v0, off offset:3528
.LBB0_22:
	s_endpgm
	.section	.rodata,"a",@progbits
	.p2align	6, 0x0
	.amdhsa_kernel fft_rtc_fwd_len882_factors_9_7_7_2_wgs_63_tpt_63_half_ip_CI_unitstride_sbrr_R2C_dirReg
		.amdhsa_group_segment_fixed_size 0
		.amdhsa_private_segment_fixed_size 0
		.amdhsa_kernarg_size 88
		.amdhsa_user_sgpr_count 6
		.amdhsa_user_sgpr_private_segment_buffer 1
		.amdhsa_user_sgpr_dispatch_ptr 0
		.amdhsa_user_sgpr_queue_ptr 0
		.amdhsa_user_sgpr_kernarg_segment_ptr 1
		.amdhsa_user_sgpr_dispatch_id 0
		.amdhsa_user_sgpr_flat_scratch_init 0
		.amdhsa_user_sgpr_private_segment_size 0
		.amdhsa_uses_dynamic_stack 0
		.amdhsa_system_sgpr_private_segment_wavefront_offset 0
		.amdhsa_system_sgpr_workgroup_id_x 1
		.amdhsa_system_sgpr_workgroup_id_y 0
		.amdhsa_system_sgpr_workgroup_id_z 0
		.amdhsa_system_sgpr_workgroup_info 0
		.amdhsa_system_vgpr_workitem_id 0
		.amdhsa_next_free_vgpr 60
		.amdhsa_next_free_sgpr 22
		.amdhsa_reserve_vcc 1
		.amdhsa_reserve_flat_scratch 0
		.amdhsa_float_round_mode_32 0
		.amdhsa_float_round_mode_16_64 0
		.amdhsa_float_denorm_mode_32 3
		.amdhsa_float_denorm_mode_16_64 3
		.amdhsa_dx10_clamp 1
		.amdhsa_ieee_mode 1
		.amdhsa_fp16_overflow 0
		.amdhsa_exception_fp_ieee_invalid_op 0
		.amdhsa_exception_fp_denorm_src 0
		.amdhsa_exception_fp_ieee_div_zero 0
		.amdhsa_exception_fp_ieee_overflow 0
		.amdhsa_exception_fp_ieee_underflow 0
		.amdhsa_exception_fp_ieee_inexact 0
		.amdhsa_exception_int_div_zero 0
	.end_amdhsa_kernel
	.text
.Lfunc_end0:
	.size	fft_rtc_fwd_len882_factors_9_7_7_2_wgs_63_tpt_63_half_ip_CI_unitstride_sbrr_R2C_dirReg, .Lfunc_end0-fft_rtc_fwd_len882_factors_9_7_7_2_wgs_63_tpt_63_half_ip_CI_unitstride_sbrr_R2C_dirReg
                                        ; -- End function
	.section	.AMDGPU.csdata,"",@progbits
; Kernel info:
; codeLenInByte = 8932
; NumSgprs: 26
; NumVgprs: 60
; ScratchSize: 0
; MemoryBound: 0
; FloatMode: 240
; IeeeMode: 1
; LDSByteSize: 0 bytes/workgroup (compile time only)
; SGPRBlocks: 3
; VGPRBlocks: 14
; NumSGPRsForWavesPerEU: 26
; NumVGPRsForWavesPerEU: 60
; Occupancy: 4
; WaveLimiterHint : 1
; COMPUTE_PGM_RSRC2:SCRATCH_EN: 0
; COMPUTE_PGM_RSRC2:USER_SGPR: 6
; COMPUTE_PGM_RSRC2:TRAP_HANDLER: 0
; COMPUTE_PGM_RSRC2:TGID_X_EN: 1
; COMPUTE_PGM_RSRC2:TGID_Y_EN: 0
; COMPUTE_PGM_RSRC2:TGID_Z_EN: 0
; COMPUTE_PGM_RSRC2:TIDIG_COMP_CNT: 0
	.type	__hip_cuid_b768cba213078bab,@object ; @__hip_cuid_b768cba213078bab
	.section	.bss,"aw",@nobits
	.globl	__hip_cuid_b768cba213078bab
__hip_cuid_b768cba213078bab:
	.byte	0                               ; 0x0
	.size	__hip_cuid_b768cba213078bab, 1

	.ident	"AMD clang version 19.0.0git (https://github.com/RadeonOpenCompute/llvm-project roc-6.4.0 25133 c7fe45cf4b819c5991fe208aaa96edf142730f1d)"
	.section	".note.GNU-stack","",@progbits
	.addrsig
	.addrsig_sym __hip_cuid_b768cba213078bab
	.amdgpu_metadata
---
amdhsa.kernels:
  - .args:
      - .actual_access:  read_only
        .address_space:  global
        .offset:         0
        .size:           8
        .value_kind:     global_buffer
      - .offset:         8
        .size:           8
        .value_kind:     by_value
      - .actual_access:  read_only
        .address_space:  global
        .offset:         16
        .size:           8
        .value_kind:     global_buffer
      - .actual_access:  read_only
        .address_space:  global
        .offset:         24
        .size:           8
        .value_kind:     global_buffer
      - .offset:         32
        .size:           8
        .value_kind:     by_value
      - .actual_access:  read_only
        .address_space:  global
        .offset:         40
        .size:           8
        .value_kind:     global_buffer
      - .actual_access:  read_only
        .address_space:  global
        .offset:         48
        .size:           8
        .value_kind:     global_buffer
      - .offset:         56
        .size:           4
        .value_kind:     by_value
      - .actual_access:  read_only
        .address_space:  global
        .offset:         64
        .size:           8
        .value_kind:     global_buffer
      - .actual_access:  read_only
        .address_space:  global
        .offset:         72
        .size:           8
        .value_kind:     global_buffer
      - .address_space:  global
        .offset:         80
        .size:           8
        .value_kind:     global_buffer
    .group_segment_fixed_size: 0
    .kernarg_segment_align: 8
    .kernarg_segment_size: 88
    .language:       OpenCL C
    .language_version:
      - 2
      - 0
    .max_flat_workgroup_size: 63
    .name:           fft_rtc_fwd_len882_factors_9_7_7_2_wgs_63_tpt_63_half_ip_CI_unitstride_sbrr_R2C_dirReg
    .private_segment_fixed_size: 0
    .sgpr_count:     26
    .sgpr_spill_count: 0
    .symbol:         fft_rtc_fwd_len882_factors_9_7_7_2_wgs_63_tpt_63_half_ip_CI_unitstride_sbrr_R2C_dirReg.kd
    .uniform_work_group_size: 1
    .uses_dynamic_stack: false
    .vgpr_count:     60
    .vgpr_spill_count: 0
    .wavefront_size: 64
amdhsa.target:   amdgcn-amd-amdhsa--gfx906
amdhsa.version:
  - 1
  - 2
...

	.end_amdgpu_metadata
